;; amdgpu-corpus repo=ROCm/rocFFT kind=compiled arch=gfx1030 opt=O3
	.text
	.amdgcn_target "amdgcn-amd-amdhsa--gfx1030"
	.amdhsa_code_object_version 6
	.protected	fft_rtc_back_len1944_factors_3_3_3_3_8_3_wgs_243_tpt_243_halfLds_sp_ip_CI_unitstride_sbrr_dirReg ; -- Begin function fft_rtc_back_len1944_factors_3_3_3_3_8_3_wgs_243_tpt_243_halfLds_sp_ip_CI_unitstride_sbrr_dirReg
	.globl	fft_rtc_back_len1944_factors_3_3_3_3_8_3_wgs_243_tpt_243_halfLds_sp_ip_CI_unitstride_sbrr_dirReg
	.p2align	8
	.type	fft_rtc_back_len1944_factors_3_3_3_3_8_3_wgs_243_tpt_243_halfLds_sp_ip_CI_unitstride_sbrr_dirReg,@function
fft_rtc_back_len1944_factors_3_3_3_3_8_3_wgs_243_tpt_243_halfLds_sp_ip_CI_unitstride_sbrr_dirReg: ; @fft_rtc_back_len1944_factors_3_3_3_3_8_3_wgs_243_tpt_243_halfLds_sp_ip_CI_unitstride_sbrr_dirReg
; %bb.0:
	s_clause 0x2
	s_load_dwordx4 s[8:11], s[4:5], 0x0
	s_load_dwordx2 s[2:3], s[4:5], 0x50
	s_load_dwordx2 s[12:13], s[4:5], 0x18
	v_mul_u32_u24_e32 v1, 0x10e, v0
	v_mov_b32_e32 v3, 0
	v_add_nc_u32_sdwa v5, s6, v1 dst_sel:DWORD dst_unused:UNUSED_PAD src0_sel:DWORD src1_sel:WORD_1
	v_mov_b32_e32 v1, 0
	v_mov_b32_e32 v6, v3
	v_mov_b32_e32 v2, 0
	s_waitcnt lgkmcnt(0)
	v_cmp_lt_u64_e64 s0, s[10:11], 2
	s_and_b32 vcc_lo, exec_lo, s0
	s_cbranch_vccnz .LBB0_8
; %bb.1:
	s_load_dwordx2 s[0:1], s[4:5], 0x10
	v_mov_b32_e32 v1, 0
	s_add_u32 s6, s12, 8
	v_mov_b32_e32 v2, 0
	s_addc_u32 s7, s13, 0
	s_mov_b64 s[16:17], 1
	s_waitcnt lgkmcnt(0)
	s_add_u32 s14, s0, 8
	s_addc_u32 s15, s1, 0
.LBB0_2:                                ; =>This Inner Loop Header: Depth=1
	s_load_dwordx2 s[18:19], s[14:15], 0x0
                                        ; implicit-def: $vgpr7_vgpr8
	s_mov_b32 s0, exec_lo
	s_waitcnt lgkmcnt(0)
	v_or_b32_e32 v4, s19, v6
	v_cmpx_ne_u64_e32 0, v[3:4]
	s_xor_b32 s1, exec_lo, s0
	s_cbranch_execz .LBB0_4
; %bb.3:                                ;   in Loop: Header=BB0_2 Depth=1
	v_cvt_f32_u32_e32 v4, s18
	v_cvt_f32_u32_e32 v7, s19
	s_sub_u32 s0, 0, s18
	s_subb_u32 s20, 0, s19
	v_fmac_f32_e32 v4, 0x4f800000, v7
	v_rcp_f32_e32 v4, v4
	v_mul_f32_e32 v4, 0x5f7ffffc, v4
	v_mul_f32_e32 v7, 0x2f800000, v4
	v_trunc_f32_e32 v7, v7
	v_fmac_f32_e32 v4, 0xcf800000, v7
	v_cvt_u32_f32_e32 v7, v7
	v_cvt_u32_f32_e32 v4, v4
	v_mul_lo_u32 v8, s0, v7
	v_mul_hi_u32 v9, s0, v4
	v_mul_lo_u32 v10, s20, v4
	v_add_nc_u32_e32 v8, v9, v8
	v_mul_lo_u32 v9, s0, v4
	v_add_nc_u32_e32 v8, v8, v10
	v_mul_hi_u32 v10, v4, v9
	v_mul_lo_u32 v11, v4, v8
	v_mul_hi_u32 v12, v4, v8
	v_mul_hi_u32 v13, v7, v9
	v_mul_lo_u32 v9, v7, v9
	v_mul_hi_u32 v14, v7, v8
	v_mul_lo_u32 v8, v7, v8
	v_add_co_u32 v10, vcc_lo, v10, v11
	v_add_co_ci_u32_e32 v11, vcc_lo, 0, v12, vcc_lo
	v_add_co_u32 v9, vcc_lo, v10, v9
	v_add_co_ci_u32_e32 v9, vcc_lo, v11, v13, vcc_lo
	v_add_co_ci_u32_e32 v10, vcc_lo, 0, v14, vcc_lo
	v_add_co_u32 v8, vcc_lo, v9, v8
	v_add_co_ci_u32_e32 v9, vcc_lo, 0, v10, vcc_lo
	v_add_co_u32 v4, vcc_lo, v4, v8
	v_add_co_ci_u32_e32 v7, vcc_lo, v7, v9, vcc_lo
	v_mul_hi_u32 v8, s0, v4
	v_mul_lo_u32 v10, s20, v4
	v_mul_lo_u32 v9, s0, v7
	v_add_nc_u32_e32 v8, v8, v9
	v_mul_lo_u32 v9, s0, v4
	v_add_nc_u32_e32 v8, v8, v10
	v_mul_hi_u32 v10, v4, v9
	v_mul_lo_u32 v11, v4, v8
	v_mul_hi_u32 v12, v4, v8
	v_mul_hi_u32 v13, v7, v9
	v_mul_lo_u32 v9, v7, v9
	v_mul_hi_u32 v14, v7, v8
	v_mul_lo_u32 v8, v7, v8
	v_add_co_u32 v10, vcc_lo, v10, v11
	v_add_co_ci_u32_e32 v11, vcc_lo, 0, v12, vcc_lo
	v_add_co_u32 v9, vcc_lo, v10, v9
	v_add_co_ci_u32_e32 v9, vcc_lo, v11, v13, vcc_lo
	v_add_co_ci_u32_e32 v10, vcc_lo, 0, v14, vcc_lo
	v_add_co_u32 v8, vcc_lo, v9, v8
	v_add_co_ci_u32_e32 v9, vcc_lo, 0, v10, vcc_lo
	v_add_co_u32 v4, vcc_lo, v4, v8
	v_add_co_ci_u32_e32 v11, vcc_lo, v7, v9, vcc_lo
	v_mul_hi_u32 v13, v5, v4
	v_mad_u64_u32 v[9:10], null, v6, v4, 0
	v_mad_u64_u32 v[7:8], null, v5, v11, 0
	;; [unrolled: 1-line block ×3, first 2 shown]
	v_add_co_u32 v4, vcc_lo, v13, v7
	v_add_co_ci_u32_e32 v7, vcc_lo, 0, v8, vcc_lo
	v_add_co_u32 v4, vcc_lo, v4, v9
	v_add_co_ci_u32_e32 v4, vcc_lo, v7, v10, vcc_lo
	v_add_co_ci_u32_e32 v7, vcc_lo, 0, v12, vcc_lo
	v_add_co_u32 v4, vcc_lo, v4, v11
	v_add_co_ci_u32_e32 v9, vcc_lo, 0, v7, vcc_lo
	v_mul_lo_u32 v10, s19, v4
	v_mad_u64_u32 v[7:8], null, s18, v4, 0
	v_mul_lo_u32 v11, s18, v9
	v_sub_co_u32 v7, vcc_lo, v5, v7
	v_add3_u32 v8, v8, v11, v10
	v_sub_nc_u32_e32 v10, v6, v8
	v_subrev_co_ci_u32_e64 v10, s0, s19, v10, vcc_lo
	v_add_co_u32 v11, s0, v4, 2
	v_add_co_ci_u32_e64 v12, s0, 0, v9, s0
	v_sub_co_u32 v13, s0, v7, s18
	v_sub_co_ci_u32_e32 v8, vcc_lo, v6, v8, vcc_lo
	v_subrev_co_ci_u32_e64 v10, s0, 0, v10, s0
	v_cmp_le_u32_e32 vcc_lo, s18, v13
	v_cmp_eq_u32_e64 s0, s19, v8
	v_cndmask_b32_e64 v13, 0, -1, vcc_lo
	v_cmp_le_u32_e32 vcc_lo, s19, v10
	v_cndmask_b32_e64 v14, 0, -1, vcc_lo
	v_cmp_le_u32_e32 vcc_lo, s18, v7
	;; [unrolled: 2-line block ×3, first 2 shown]
	v_cndmask_b32_e64 v15, 0, -1, vcc_lo
	v_cmp_eq_u32_e32 vcc_lo, s19, v10
	v_cndmask_b32_e64 v7, v15, v7, s0
	v_cndmask_b32_e32 v10, v14, v13, vcc_lo
	v_add_co_u32 v13, vcc_lo, v4, 1
	v_add_co_ci_u32_e32 v14, vcc_lo, 0, v9, vcc_lo
	v_cmp_ne_u32_e32 vcc_lo, 0, v10
	v_cndmask_b32_e32 v8, v14, v12, vcc_lo
	v_cndmask_b32_e32 v10, v13, v11, vcc_lo
	v_cmp_ne_u32_e32 vcc_lo, 0, v7
	v_cndmask_b32_e32 v8, v9, v8, vcc_lo
	v_cndmask_b32_e32 v7, v4, v10, vcc_lo
.LBB0_4:                                ;   in Loop: Header=BB0_2 Depth=1
	s_andn2_saveexec_b32 s0, s1
	s_cbranch_execz .LBB0_6
; %bb.5:                                ;   in Loop: Header=BB0_2 Depth=1
	v_cvt_f32_u32_e32 v4, s18
	s_sub_i32 s1, 0, s18
	v_rcp_iflag_f32_e32 v4, v4
	v_mul_f32_e32 v4, 0x4f7ffffe, v4
	v_cvt_u32_f32_e32 v4, v4
	v_mul_lo_u32 v7, s1, v4
	v_mul_hi_u32 v7, v4, v7
	v_add_nc_u32_e32 v4, v4, v7
	v_mul_hi_u32 v4, v5, v4
	v_mul_lo_u32 v7, v4, s18
	v_add_nc_u32_e32 v8, 1, v4
	v_sub_nc_u32_e32 v7, v5, v7
	v_subrev_nc_u32_e32 v9, s18, v7
	v_cmp_le_u32_e32 vcc_lo, s18, v7
	v_cndmask_b32_e32 v7, v7, v9, vcc_lo
	v_cndmask_b32_e32 v4, v4, v8, vcc_lo
	v_cmp_le_u32_e32 vcc_lo, s18, v7
	v_add_nc_u32_e32 v8, 1, v4
	v_cndmask_b32_e32 v7, v4, v8, vcc_lo
	v_mov_b32_e32 v8, v3
.LBB0_6:                                ;   in Loop: Header=BB0_2 Depth=1
	s_or_b32 exec_lo, exec_lo, s0
	s_load_dwordx2 s[0:1], s[6:7], 0x0
	v_mul_lo_u32 v4, v8, s18
	v_mul_lo_u32 v11, v7, s19
	v_mad_u64_u32 v[9:10], null, v7, s18, 0
	s_add_u32 s16, s16, 1
	s_addc_u32 s17, s17, 0
	s_add_u32 s6, s6, 8
	s_addc_u32 s7, s7, 0
	;; [unrolled: 2-line block ×3, first 2 shown]
	v_add3_u32 v4, v10, v11, v4
	v_sub_co_u32 v5, vcc_lo, v5, v9
	v_sub_co_ci_u32_e32 v4, vcc_lo, v6, v4, vcc_lo
	s_waitcnt lgkmcnt(0)
	v_mul_lo_u32 v6, s1, v5
	v_mul_lo_u32 v4, s0, v4
	v_mad_u64_u32 v[1:2], null, s0, v5, v[1:2]
	v_cmp_ge_u64_e64 s0, s[16:17], s[10:11]
	s_and_b32 vcc_lo, exec_lo, s0
	v_add3_u32 v2, v6, v2, v4
	s_cbranch_vccnz .LBB0_9
; %bb.7:                                ;   in Loop: Header=BB0_2 Depth=1
	v_mov_b32_e32 v5, v7
	v_mov_b32_e32 v6, v8
	s_branch .LBB0_2
.LBB0_8:
	v_mov_b32_e32 v8, v6
	v_mov_b32_e32 v7, v5
.LBB0_9:
	s_lshl_b64 s[0:1], s[10:11], 3
	v_mul_hi_u32 v5, 0x10db20b, v0
	s_add_u32 s0, s12, s0
	s_addc_u32 s1, s13, s1
                                        ; implicit-def: $vgpr22
                                        ; implicit-def: $vgpr12
                                        ; implicit-def: $vgpr10
                                        ; implicit-def: $vgpr18
                                        ; implicit-def: $vgpr20
                                        ; implicit-def: $vgpr26
                                        ; implicit-def: $vgpr24
	s_load_dwordx2 s[0:1], s[0:1], 0x0
	s_load_dwordx2 s[4:5], s[4:5], 0x20
	s_waitcnt lgkmcnt(0)
	v_mul_lo_u32 v3, s0, v8
	v_mul_lo_u32 v4, s1, v7
	v_mad_u64_u32 v[1:2], null, s0, v7, v[1:2]
	v_cmp_gt_u64_e32 vcc_lo, s[4:5], v[7:8]
	v_add3_u32 v2, v4, v2, v3
	v_mul_u32_u24_e32 v3, 0xf3, v5
	v_lshlrev_b64 v[6:7], 3, v[1:2]
	v_sub_nc_u32_e32 v4, v0, v3
                                        ; implicit-def: $vgpr3
                                        ; implicit-def: $vgpr1
	s_and_saveexec_b32 s1, vcc_lo
	s_cbranch_execz .LBB0_13
; %bb.10:
	v_mov_b32_e32 v5, 0
	v_add_co_u32 v2, s0, s2, v6
	v_add_co_ci_u32_e64 v3, s0, s3, v7, s0
	v_lshlrev_b64 v[0:1], 3, v[4:5]
	s_mov_b32 s4, exec_lo
                                        ; implicit-def: $vgpr23
                                        ; implicit-def: $vgpr25
	v_add_co_u32 v13, s0, v2, v0
	v_add_co_ci_u32_e64 v14, s0, v3, v1, s0
	v_add_co_u32 v0, s0, 0x1000, v13
	v_add_co_ci_u32_e64 v1, s0, 0, v14, s0
	;; [unrolled: 2-line block ×5, first 2 shown]
	s_clause 0x5
	global_load_dwordx2 v[2:3], v[13:14], off
	global_load_dwordx2 v[11:12], v[8:9], off offset:128
	global_load_dwordx2 v[21:22], v[0:1], off offset:1088
	global_load_dwordx2 v[9:10], v[13:14], off offset:1944
	global_load_dwordx2 v[17:18], v[17:18], off offset:984
	global_load_dwordx2 v[19:20], v[15:16], off offset:24
                                        ; implicit-def: $vgpr0
	v_cmpx_gt_u32_e32 0xa2, v4
; %bb.11:
	v_add_co_u32 v0, s0, 0x2000, v13
	v_add_co_ci_u32_e64 v1, s0, 0, v14, s0
	v_add_co_u32 v13, s0, 0x800, v13
	v_add_co_ci_u32_e64 v14, s0, 0, v14, s0
	s_clause 0x2
	global_load_dwordx2 v[23:24], v[0:1], off offset:880
	global_load_dwordx2 v[0:1], v[13:14], off offset:1840
	;; [unrolled: 1-line block ×3, first 2 shown]
; %bb.12:
	s_or_b32 exec_lo, exec_lo, s4
.LBB0_13:
	s_or_b32 exec_lo, exec_lo, s1
	s_waitcnt vmcnt(3)
	v_add_f32_e32 v5, v21, v11
	s_waitcnt vmcnt(0)
	v_add_f32_e32 v15, v25, v23
	v_add_f32_e32 v8, v2, v21
	v_sub_f32_e32 v13, v22, v12
	v_add_f32_e32 v14, v17, v19
	v_fmac_f32_e32 v2, -0.5, v5
	v_add_f32_e32 v16, v0, v23
	v_fmac_f32_e32 v0, -0.5, v15
	v_sub_f32_e32 v15, v24, v26
	v_mad_u32_u24 v29, v4, 12, 0
	v_add_f32_e32 v5, v9, v17
	v_fmac_f32_e32 v9, -0.5, v14
	v_fmamk_f32 v14, v13, 0xbf5db3d7, v2
	v_fmac_f32_e32 v2, 0x3f5db3d7, v13
	v_sub_f32_e32 v13, v18, v20
	v_add_f32_e32 v8, v8, v11
	v_add_f32_e32 v27, v25, v16
	v_fmamk_f32 v28, v15, 0xbf5db3d7, v0
	v_fmac_f32_e32 v0, 0x3f5db3d7, v15
	v_add_nc_u32_e32 v31, 0xb64, v29
	v_cmp_gt_u32_e64 s0, 0xa2, v4
	v_add_nc_u32_e32 v30, 0x16c8, v29
	v_add_f32_e32 v5, v5, v19
	v_fmamk_f32 v32, v13, 0xbf5db3d7, v9
	v_fmac_f32_e32 v9, 0x3f5db3d7, v13
	ds_write2_b32 v29, v8, v14 offset1:1
	ds_write_b32 v29, v2 offset:8
	ds_write2_b32 v31, v5, v32 offset1:1
	ds_write_b32 v29, v9 offset:2924
	s_and_saveexec_b32 s1, s0
	s_cbranch_execz .LBB0_15
; %bb.14:
	ds_write2_b32 v30, v27, v28 offset1:1
	ds_write_b32 v29, v0 offset:5840
.LBB0_15:
	s_or_b32 exec_lo, exec_lo, s1
	v_lshlrev_b32_e32 v2, 3, v4
	s_waitcnt lgkmcnt(0)
	s_barrier
	buffer_gl0_inv
	v_sub_nc_u32_e32 v5, v29, v2
	v_add_nc_u32_e32 v2, 0xa00, v5
	v_add_nc_u32_e32 v13, 0x1440, v5
	ds_read2_b32 v[8:9], v5 offset1:243
	ds_read2_b32 v[15:16], v2 offset0:8 offset1:251
	ds_read2_b32 v[13:14], v13 offset1:243
	s_and_saveexec_b32 s1, s0
	s_cbranch_execz .LBB0_17
; %bb.16:
	ds_read_b32 v27, v5 offset:1944
	ds_read_b32 v28, v5 offset:4536
	;; [unrolled: 1-line block ×3, first 2 shown]
.LBB0_17:
	s_or_b32 exec_lo, exec_lo, s1
	v_add_f32_e32 v2, v22, v12
	v_add_f32_e32 v22, v3, v22
	v_sub_f32_e32 v11, v21, v11
	v_add_f32_e32 v21, v18, v20
	s_waitcnt lgkmcnt(0)
	v_fmac_f32_e32 v3, -0.5, v2
	v_add_f32_e32 v2, v10, v18
	v_add_f32_e32 v18, v26, v24
	v_fmac_f32_e32 v10, -0.5, v21
	v_add_f32_e32 v12, v22, v12
	v_fmamk_f32 v21, v11, 0x3f5db3d7, v3
	v_fmac_f32_e32 v3, 0xbf5db3d7, v11
	v_sub_f32_e32 v11, v17, v19
	v_add_f32_e32 v17, v1, v24
	v_fmac_f32_e32 v1, -0.5, v18
	v_sub_f32_e32 v18, v23, v25
	v_add_f32_e32 v2, v2, v20
	v_fmamk_f32 v19, v11, 0x3f5db3d7, v10
	v_add_f32_e32 v23, v26, v17
	v_fmac_f32_e32 v10, 0xbf5db3d7, v11
	v_fmamk_f32 v22, v18, 0x3f5db3d7, v1
	v_fmac_f32_e32 v1, 0xbf5db3d7, v18
	s_barrier
	buffer_gl0_inv
	ds_write2_b32 v29, v12, v21 offset1:1
	ds_write_b32 v29, v3 offset:8
	ds_write2_b32 v31, v2, v19 offset1:1
	ds_write_b32 v29, v10 offset:2924
	s_and_saveexec_b32 s1, s0
	s_cbranch_execz .LBB0_19
; %bb.18:
	ds_write2_b32 v30, v23, v22 offset1:1
	ds_write_b32 v29, v1 offset:5840
.LBB0_19:
	s_or_b32 exec_lo, exec_lo, s1
	v_add_nc_u32_e32 v10, 0xa00, v5
	v_add_nc_u32_e32 v11, 0x1440, v5
	s_waitcnt lgkmcnt(0)
	s_barrier
	buffer_gl0_inv
	ds_read2_b32 v[2:3], v5 offset1:243
	ds_read2_b32 v[17:18], v10 offset0:8 offset1:251
	ds_read2_b32 v[10:11], v11 offset1:243
	s_and_saveexec_b32 s1, s0
	s_cbranch_execz .LBB0_21
; %bb.20:
	ds_read_b32 v23, v5 offset:1944
	ds_read_b32 v22, v5 offset:4536
	;; [unrolled: 1-line block ×3, first 2 shown]
.LBB0_21:
	s_or_b32 exec_lo, exec_lo, s1
	v_and_b32_e32 v19, 0xff, v4
	v_add_nc_u32_e32 v21, 0xf3, v4
	v_mov_b32_e32 v12, 0xaaab
	v_add_nc_u32_e32 v20, 0x1e6, v4
	v_mov_b32_e32 v29, 4
	v_mul_lo_u16 v24, 0xab, v19
	v_mov_b32_e32 v37, 2
	v_mul_u32_u24_sdwa v25, v21, v12 dst_sel:DWORD dst_unused:UNUSED_PAD src0_sel:WORD_0 src1_sel:DWORD
	v_mul_u32_u24_sdwa v12, v20, v12 dst_sel:DWORD dst_unused:UNUSED_PAD src0_sel:WORD_0 src1_sel:DWORD
	v_lshrrev_b16 v24, 9, v24
	v_lshrrev_b32_e32 v25, 17, v25
	v_lshrrev_b32_e32 v30, 17, v12
	v_mul_lo_u16 v26, v24, 3
	v_mul_lo_u16 v12, v25, 3
	;; [unrolled: 1-line block ×3, first 2 shown]
	v_mul_u32_u24_e32 v25, 36, v25
	v_sub_nc_u16 v26, v4, v26
	v_sub_nc_u16 v32, v21, v12
	;; [unrolled: 1-line block ×3, first 2 shown]
	v_lshlrev_b32_sdwa v33, v29, v26 dst_sel:DWORD dst_unused:UNUSED_PAD src0_sel:DWORD src1_sel:BYTE_0
	v_lshlrev_b32_sdwa v26, v37, v26 dst_sel:DWORD dst_unused:UNUSED_PAD src0_sel:DWORD src1_sel:BYTE_0
	v_lshlrev_b32_sdwa v31, v29, v32 dst_sel:DWORD dst_unused:UNUSED_PAD src0_sel:DWORD src1_sel:WORD_0
	v_lshlrev_b32_sdwa v29, v29, v12 dst_sel:DWORD dst_unused:UNUSED_PAD src0_sel:DWORD src1_sel:WORD_0
	s_clause 0x2
	global_load_dwordx4 v[38:41], v33, s[8:9]
	global_load_dwordx4 v[42:45], v31, s[8:9]
	global_load_dwordx4 v[46:49], v29, s[8:9]
	v_mov_b32_e32 v29, 36
	s_waitcnt vmcnt(0) lgkmcnt(0)
	s_barrier
	buffer_gl0_inv
	v_mul_u32_u24_sdwa v29, v24, v29 dst_sel:DWORD dst_unused:UNUSED_PAD src0_sel:WORD_0 src1_sel:DWORD
	v_mul_lo_u16 v24, v30, 9
	v_lshlrev_b32_sdwa v30, v37, v32 dst_sel:DWORD dst_unused:UNUSED_PAD src0_sel:DWORD src1_sel:WORD_0
	v_add3_u32 v29, 0, v29, v26
	v_add3_u32 v26, 0, v25, v30
	v_mul_f32_e32 v33, v17, v39
	v_mul_f32_e32 v34, v10, v41
	;; [unrolled: 1-line block ×12, first 2 shown]
	v_fmac_f32_e32 v33, v15, v38
	v_fmac_f32_e32 v34, v13, v40
	;; [unrolled: 1-line block ×6, first 2 shown]
	v_fma_f32 v36, v17, v38, -v35
	v_fma_f32 v15, v10, v40, -v39
	;; [unrolled: 1-line block ×6, first 2 shown]
	v_add_f32_e32 v1, v33, v34
	v_add_f32_e32 v16, v25, v31
	;; [unrolled: 1-line block ×4, first 2 shown]
	v_sub_f32_e32 v10, v36, v15
	v_add_f32_e32 v11, v9, v25
	v_sub_f32_e32 v18, v35, v13
	v_add_f32_e32 v22, v27, v30
	v_sub_f32_e32 v38, v17, v14
	v_fma_f32 v1, -0.5, v1, v8
	v_fmac_f32_e32 v9, -0.5, v16
	v_fmac_f32_e32 v27, -0.5, v28
	v_add_f32_e32 v0, v0, v34
	v_add_f32_e32 v8, v11, v31
	;; [unrolled: 1-line block ×3, first 2 shown]
	v_fmamk_f32 v11, v10, 0xbf5db3d7, v1
	v_fmac_f32_e32 v1, 0x3f5db3d7, v10
	v_fmamk_f32 v10, v18, 0xbf5db3d7, v9
	v_fmac_f32_e32 v9, 0x3f5db3d7, v18
	;; [unrolled: 2-line block ×3, first 2 shown]
	ds_write2_b32 v29, v0, v11 offset1:3
	ds_write_b32 v29, v1 offset:24
	ds_write2_b32 v26, v8, v10 offset1:3
	ds_write_b32 v26, v9 offset:24
	s_and_saveexec_b32 s1, s0
	s_cbranch_execz .LBB0_23
; %bb.22:
	v_lshlrev_b32_sdwa v0, v37, v12 dst_sel:DWORD dst_unused:UNUSED_PAD src0_sel:DWORD src1_sel:WORD_0
	v_lshlrev_b32_sdwa v1, v37, v24 dst_sel:DWORD dst_unused:UNUSED_PAD src0_sel:DWORD src1_sel:WORD_0
	v_add3_u32 v0, 0, v0, v1
	ds_write2_b32 v0, v16, v18 offset1:3
	ds_write_b32 v0, v27 offset:24
.LBB0_23:
	s_or_b32 exec_lo, exec_lo, s1
	v_add_nc_u32_e32 v8, 0xa00, v5
	v_add_nc_u32_e32 v9, 0x1440, v5
	s_waitcnt lgkmcnt(0)
	s_barrier
	buffer_gl0_inv
	ds_read2_b32 v[0:1], v5 offset1:243
	ds_read2_b32 v[10:11], v8 offset0:8 offset1:251
	ds_read2_b32 v[8:9], v9 offset1:243
	v_lshl_add_u32 v22, v4, 2, 0
	s_and_saveexec_b32 s1, s0
	s_cbranch_execz .LBB0_25
; %bb.24:
	ds_read_b32 v18, v5 offset:4536
	ds_read_b32 v16, v22 offset:1944
	ds_read_b32 v27, v5 offset:7128
.LBB0_25:
	s_or_b32 exec_lo, exec_lo, s1
	v_add_f32_e32 v28, v36, v15
	v_add_f32_e32 v36, v2, v36
	v_sub_f32_e32 v33, v33, v34
	v_add_f32_e32 v34, v35, v13
	v_sub_f32_e32 v25, v25, v31
	v_fma_f32 v2, -0.5, v28, v2
	v_add_f32_e32 v28, v3, v35
	v_add_f32_e32 v35, v17, v14
	v_fmac_f32_e32 v3, -0.5, v34
	v_add_f32_e32 v17, v23, v17
	v_sub_f32_e32 v30, v30, v32
	v_add_f32_e32 v15, v36, v15
	v_fmac_f32_e32 v23, -0.5, v35
	v_fmamk_f32 v34, v33, 0x3f5db3d7, v2
	v_add_f32_e32 v13, v28, v13
	v_fmamk_f32 v28, v25, 0x3f5db3d7, v3
	v_fmac_f32_e32 v3, 0xbf5db3d7, v25
	v_add_f32_e32 v17, v17, v14
	v_fmamk_f32 v25, v30, 0x3f5db3d7, v23
	v_fmac_f32_e32 v23, 0xbf5db3d7, v30
	v_fmac_f32_e32 v2, 0xbf5db3d7, v33
	s_waitcnt lgkmcnt(0)
	s_barrier
	buffer_gl0_inv
	ds_write2_b32 v29, v15, v34 offset1:3
	ds_write_b32 v29, v2 offset:24
	ds_write2_b32 v26, v13, v28 offset1:3
	ds_write_b32 v26, v3 offset:24
	s_and_saveexec_b32 s1, s0
	s_cbranch_execz .LBB0_27
; %bb.26:
	v_mov_b32_e32 v2, 2
	v_lshlrev_b32_sdwa v3, v2, v12 dst_sel:DWORD dst_unused:UNUSED_PAD src0_sel:DWORD src1_sel:WORD_0
	v_lshlrev_b32_sdwa v2, v2, v24 dst_sel:DWORD dst_unused:UNUSED_PAD src0_sel:DWORD src1_sel:WORD_0
	v_add3_u32 v2, 0, v3, v2
	ds_write2_b32 v2, v17, v25 offset1:3
	ds_write_b32 v2, v23 offset:24
.LBB0_27:
	s_or_b32 exec_lo, exec_lo, s1
	v_add_nc_u32_e32 v12, 0xa00, v5
	v_add_nc_u32_e32 v13, 0x1440, v5
	s_waitcnt lgkmcnt(0)
	s_barrier
	buffer_gl0_inv
	ds_read2_b32 v[2:3], v5 offset1:243
	ds_read2_b32 v[14:15], v12 offset0:8 offset1:251
	ds_read2_b32 v[12:13], v13 offset1:243
	s_and_saveexec_b32 s1, s0
	s_cbranch_execz .LBB0_29
; %bb.28:
	ds_read_b32 v25, v5 offset:4536
	ds_read_b32 v17, v22 offset:1944
	;; [unrolled: 1-line block ×3, first 2 shown]
.LBB0_29:
	s_or_b32 exec_lo, exec_lo, s1
	v_mul_lo_u16 v24, v19, 57
	v_mov_b32_e32 v26, 0xe38f
	v_mov_b32_e32 v30, 4
	;; [unrolled: 1-line block ×3, first 2 shown]
	v_lshrrev_b16 v28, 9, v24
	v_mul_u32_u24_sdwa v24, v21, v26 dst_sel:DWORD dst_unused:UNUSED_PAD src0_sel:WORD_0 src1_sel:DWORD
	v_mul_u32_u24_sdwa v26, v20, v26 dst_sel:DWORD dst_unused:UNUSED_PAD src0_sel:WORD_0 src1_sel:DWORD
	v_mul_lo_u16 v29, v28, 9
	v_lshrrev_b32_e32 v31, 19, v24
	v_lshrrev_b32_e32 v26, 19, v26
	v_sub_nc_u16 v29, v4, v29
	v_mul_lo_u16 v24, v31, 9
	v_mul_lo_u16 v33, v26, 9
	v_mul_u32_u24_e32 v31, 0x6c, v31
	v_lshlrev_b32_sdwa v32, v30, v29 dst_sel:DWORD dst_unused:UNUSED_PAD src0_sel:DWORD src1_sel:BYTE_0
	v_sub_nc_u16 v34, v21, v24
	v_sub_nc_u16 v24, v20, v33
	v_lshlrev_b32_sdwa v29, v37, v29 dst_sel:DWORD dst_unused:UNUSED_PAD src0_sel:DWORD src1_sel:BYTE_0
	global_load_dwordx4 v[38:41], v32, s[8:9] offset:48
	v_lshlrev_b32_sdwa v32, v30, v34 dst_sel:DWORD dst_unused:UNUSED_PAD src0_sel:DWORD src1_sel:WORD_0
	v_lshlrev_b32_sdwa v30, v30, v24 dst_sel:DWORD dst_unused:UNUSED_PAD src0_sel:DWORD src1_sel:WORD_0
	s_clause 0x1
	global_load_dwordx4 v[42:45], v32, s[8:9] offset:48
	global_load_dwordx4 v[46:49], v30, s[8:9] offset:48
	v_mov_b32_e32 v30, 0x6c
	s_waitcnt vmcnt(0) lgkmcnt(0)
	s_barrier
	buffer_gl0_inv
	v_mul_u32_u24_sdwa v30, v28, v30 dst_sel:DWORD dst_unused:UNUSED_PAD src0_sel:WORD_0 src1_sel:DWORD
	v_mul_lo_u16 v28, v26, 27
	v_lshlrev_b32_sdwa v26, v37, v34 dst_sel:DWORD dst_unused:UNUSED_PAD src0_sel:DWORD src1_sel:WORD_0
	v_add3_u32 v29, 0, v30, v29
	v_add3_u32 v30, 0, v31, v26
	v_mul_f32_e32 v32, v10, v39
	v_mul_f32_e32 v36, v8, v41
	;; [unrolled: 1-line block ×5, first 2 shown]
	v_fma_f32 v35, v14, v38, -v32
	v_fma_f32 v32, v12, v40, -v36
	v_mul_f32_e32 v12, v15, v43
	v_mul_f32_e32 v14, v25, v47
	;; [unrolled: 1-line block ×3, first 2 shown]
	v_fmac_f32_e32 v33, v10, v38
	v_fmac_f32_e32 v34, v8, v40
	v_mul_f32_e32 v8, v11, v43
	v_mul_f32_e32 v10, v9, v45
	;; [unrolled: 1-line block ×4, first 2 shown]
	v_fmac_f32_e32 v12, v11, v42
	v_fmac_f32_e32 v26, v9, v44
	;; [unrolled: 1-line block ×4, first 2 shown]
	v_fma_f32 v36, v15, v42, -v8
	v_fma_f32 v13, v13, v44, -v10
	;; [unrolled: 1-line block ×3, first 2 shown]
	v_add_f32_e32 v9, v33, v34
	v_fma_f32 v15, v23, v48, -v39
	v_add_f32_e32 v11, v12, v26
	v_add_f32_e32 v27, v14, v31
	;; [unrolled: 1-line block ×3, first 2 shown]
	v_sub_f32_e32 v10, v35, v32
	v_fma_f32 v0, -0.5, v9, v0
	v_add_f32_e32 v9, v1, v12
	v_sub_f32_e32 v23, v36, v13
	v_add_f32_e32 v18, v16, v14
	v_sub_f32_e32 v38, v25, v15
	v_fmac_f32_e32 v1, -0.5, v11
	v_fmac_f32_e32 v16, -0.5, v27
	v_add_f32_e32 v8, v8, v34
	v_fmamk_f32 v39, v10, 0xbf5db3d7, v0
	v_fmac_f32_e32 v0, 0x3f5db3d7, v10
	v_add_f32_e32 v18, v18, v31
	v_fmamk_f32 v10, v23, 0xbf5db3d7, v1
	v_fmac_f32_e32 v1, 0x3f5db3d7, v23
	v_fmamk_f32 v23, v38, 0xbf5db3d7, v16
	v_fmac_f32_e32 v16, 0x3f5db3d7, v38
	v_add_f32_e32 v9, v9, v26
	ds_write2_b32 v29, v8, v39 offset1:9
	ds_write_b32 v29, v0 offset:72
	ds_write2_b32 v30, v9, v10 offset1:9
	ds_write_b32 v30, v1 offset:72
	s_and_saveexec_b32 s1, s0
	s_cbranch_execz .LBB0_31
; %bb.30:
	v_lshlrev_b32_sdwa v0, v37, v24 dst_sel:DWORD dst_unused:UNUSED_PAD src0_sel:DWORD src1_sel:WORD_0
	v_lshlrev_b32_sdwa v1, v37, v28 dst_sel:DWORD dst_unused:UNUSED_PAD src0_sel:DWORD src1_sel:WORD_0
	v_add3_u32 v0, 0, v0, v1
	ds_write2_b32 v0, v18, v23 offset1:9
	ds_write_b32 v0, v16 offset:72
.LBB0_31:
	s_or_b32 exec_lo, exec_lo, s1
	v_add_nc_u32_e32 v8, 0xa00, v5
	v_add_nc_u32_e32 v9, 0x1440, v5
	s_waitcnt lgkmcnt(0)
	s_barrier
	buffer_gl0_inv
	ds_read2_b32 v[0:1], v5 offset1:243
	ds_read2_b32 v[10:11], v8 offset0:8 offset1:251
	ds_read2_b32 v[8:9], v9 offset1:243
	s_and_saveexec_b32 s1, s0
	s_cbranch_execz .LBB0_33
; %bb.32:
	ds_read_b32 v23, v5 offset:4536
	ds_read_b32 v18, v22 offset:1944
	;; [unrolled: 1-line block ×3, first 2 shown]
.LBB0_33:
	s_or_b32 exec_lo, exec_lo, s1
	v_add_f32_e32 v27, v35, v32
	v_add_f32_e32 v35, v2, v35
	v_sub_f32_e32 v33, v33, v34
	v_add_f32_e32 v34, v36, v13
	v_sub_f32_e32 v14, v14, v31
	v_fma_f32 v2, -0.5, v27, v2
	v_add_f32_e32 v27, v3, v36
	v_add_f32_e32 v36, v25, v15
	;; [unrolled: 1-line block ×3, first 2 shown]
	v_fmac_f32_e32 v3, -0.5, v34
	v_sub_f32_e32 v12, v12, v26
	v_add_f32_e32 v32, v35, v32
	v_fmac_f32_e32 v17, -0.5, v36
	v_fmamk_f32 v34, v33, 0x3f5db3d7, v2
	v_add_f32_e32 v25, v25, v15
	v_fmac_f32_e32 v2, 0xbf5db3d7, v33
	v_add_f32_e32 v13, v27, v13
	v_fmamk_f32 v26, v14, 0x3f5db3d7, v17
	v_fmac_f32_e32 v17, 0xbf5db3d7, v14
	v_fmamk_f32 v27, v12, 0x3f5db3d7, v3
	v_fmac_f32_e32 v3, 0xbf5db3d7, v12
	s_waitcnt lgkmcnt(0)
	s_barrier
	buffer_gl0_inv
	ds_write2_b32 v29, v32, v34 offset1:9
	ds_write_b32 v29, v2 offset:72
	ds_write2_b32 v30, v13, v27 offset1:9
	ds_write_b32 v30, v3 offset:72
	s_and_saveexec_b32 s1, s0
	s_cbranch_execz .LBB0_35
; %bb.34:
	v_mov_b32_e32 v2, 2
	v_lshlrev_b32_sdwa v3, v2, v24 dst_sel:DWORD dst_unused:UNUSED_PAD src0_sel:DWORD src1_sel:WORD_0
	v_lshlrev_b32_sdwa v2, v2, v28 dst_sel:DWORD dst_unused:UNUSED_PAD src0_sel:DWORD src1_sel:WORD_0
	v_add3_u32 v2, 0, v3, v2
	ds_write2_b32 v2, v25, v26 offset1:9
	ds_write_b32 v2, v17 offset:72
.LBB0_35:
	s_or_b32 exec_lo, exec_lo, s1
	v_add_nc_u32_e32 v12, 0xa00, v5
	v_add_nc_u32_e32 v13, 0x1440, v5
	s_waitcnt lgkmcnt(0)
	s_barrier
	buffer_gl0_inv
	ds_read2_b32 v[2:3], v5 offset1:243
	ds_read2_b32 v[14:15], v12 offset0:8 offset1:251
	ds_read2_b32 v[12:13], v13 offset1:243
	s_and_saveexec_b32 s1, s0
	s_cbranch_execz .LBB0_37
; %bb.36:
	ds_read_b32 v26, v5 offset:4536
	ds_read_b32 v25, v22 offset:1944
	;; [unrolled: 1-line block ×3, first 2 shown]
.LBB0_37:
	s_or_b32 exec_lo, exec_lo, s1
	v_mov_b32_e32 v24, 0x2f69
	v_mul_lo_u16 v27, v19, 19
	v_mov_b32_e32 v34, 4
	v_mov_b32_e32 v47, 0x144
	;; [unrolled: 1-line block ×3, first 2 shown]
	v_mul_u32_u24_sdwa v28, v21, v24 dst_sel:DWORD dst_unused:UNUSED_PAD src0_sel:WORD_0 src1_sel:DWORD
	v_mul_u32_u24_sdwa v24, v20, v24 dst_sel:DWORD dst_unused:UNUSED_PAD src0_sel:WORD_0 src1_sel:DWORD
	v_lshrrev_b16 v29, 9, v27
	v_lshrrev_b32_e32 v27, 16, v28
	v_lshrrev_b32_e32 v24, 16, v24
	v_mul_lo_u16 v28, v29, 27
	v_mul_u32_u24_sdwa v29, v29, v47 dst_sel:DWORD dst_unused:UNUSED_PAD src0_sel:WORD_0 src1_sel:DWORD
	v_sub_nc_u16 v30, v21, v27
	v_sub_nc_u16 v31, v20, v24
	v_sub_nc_u16 v28, v4, v28
	v_lshrrev_b16 v30, 1, v30
	v_lshrrev_b16 v35, 1, v31
	v_lshlrev_b32_sdwa v32, v34, v28 dst_sel:DWORD dst_unused:UNUSED_PAD src0_sel:DWORD src1_sel:BYTE_0
	v_lshlrev_b32_sdwa v28, v37, v28 dst_sel:DWORD dst_unused:UNUSED_PAD src0_sel:DWORD src1_sel:BYTE_0
	v_add_nc_u16 v27, v30, v27
	v_add_nc_u16 v24, v35, v24
	global_load_dwordx4 v[30:33], v32, s[8:9] offset:192
	v_add3_u32 v29, 0, v29, v28
	v_lshrrev_b16 v36, 4, v27
	v_lshrrev_b16 v24, 4, v24
	v_mul_lo_u16 v27, v36, 27
	v_mul_lo_u16 v35, v24, 27
	v_mul_u32_u24_sdwa v36, v36, v47 dst_sel:DWORD dst_unused:UNUSED_PAD src0_sel:WORD_0 src1_sel:DWORD
	v_mul_lo_u16 v28, 0x51, v24
	v_sub_nc_u16 v46, v21, v27
	v_sub_nc_u16 v27, v20, v35
	v_lshlrev_b32_sdwa v35, v34, v46 dst_sel:DWORD dst_unused:UNUSED_PAD src0_sel:DWORD src1_sel:WORD_0
	v_lshlrev_b32_sdwa v34, v34, v27 dst_sel:DWORD dst_unused:UNUSED_PAD src0_sel:DWORD src1_sel:WORD_0
	s_clause 0x1
	global_load_dwordx4 v[38:41], v35, s[8:9] offset:192
	global_load_dwordx4 v[42:45], v34, s[8:9] offset:192
	s_waitcnt vmcnt(0) lgkmcnt(0)
	s_barrier
	buffer_gl0_inv
	v_mul_f32_e32 v34, v14, v31
	v_mul_f32_e32 v35, v12, v33
	;; [unrolled: 1-line block ×4, first 2 shown]
	v_fmac_f32_e32 v34, v10, v30
	v_fmac_f32_e32 v35, v8, v32
	v_fma_f32 v10, v14, v30, -v31
	v_fma_f32 v8, v12, v32, -v33
	v_lshlrev_b32_sdwa v14, v37, v46 dst_sel:DWORD dst_unused:UNUSED_PAD src0_sel:DWORD src1_sel:WORD_0
	v_add_f32_e32 v24, v0, v34
	v_add_f32_e32 v12, v34, v35
	v_sub_f32_e32 v46, v10, v8
	v_fma_f32 v12, -0.5, v12, v0
	v_add3_u32 v0, 0, v36, v14
	v_add_f32_e32 v14, v24, v35
	v_fmamk_f32 v47, v46, 0xbf5db3d7, v12
	v_mul_f32_e32 v24, v15, v39
	v_mul_f32_e32 v30, v13, v41
	v_mul_f32_e32 v31, v26, v43
	v_mul_f32_e32 v32, v17, v45
	v_mul_f32_e32 v33, v11, v39
	v_mul_f32_e32 v39, v9, v41
	v_mul_f32_e32 v41, v23, v43
	v_mul_f32_e32 v43, v16, v45
	v_fmac_f32_e32 v24, v11, v38
	v_fmac_f32_e32 v30, v9, v40
	;; [unrolled: 1-line block ×4, first 2 shown]
	v_fma_f32 v36, v15, v38, -v33
	v_fma_f32 v33, v13, v40, -v39
	;; [unrolled: 1-line block ×3, first 2 shown]
	v_add_f32_e32 v9, v24, v30
	v_fma_f32 v16, v17, v44, -v43
	v_add_f32_e32 v13, v31, v32
	v_add_f32_e32 v15, v1, v24
	v_sub_f32_e32 v17, v36, v33
	v_fmac_f32_e32 v1, -0.5, v9
	v_sub_f32_e32 v11, v26, v16
	v_fma_f32 v9, -0.5, v13, v18
	v_fmac_f32_e32 v12, 0x3f5db3d7, v46
	v_add_f32_e32 v13, v15, v30
	v_fmamk_f32 v15, v17, 0xbf5db3d7, v1
	v_fmac_f32_e32 v1, 0x3f5db3d7, v17
	v_fmamk_f32 v23, v11, 0x3f5db3d7, v9
	ds_write2_b32 v29, v14, v47 offset1:27
	ds_write_b32 v29, v12 offset:216
	ds_write2_b32 v0, v13, v15 offset1:27
	ds_write_b32 v0, v1 offset:216
	s_and_saveexec_b32 s1, s0
	s_cbranch_execz .LBB0_39
; %bb.38:
	v_mul_f32_e32 v1, 0x3f5db3d7, v11
	v_add_f32_e32 v11, v18, v31
	v_lshlrev_b32_sdwa v12, v37, v27 dst_sel:DWORD dst_unused:UNUSED_PAD src0_sel:DWORD src1_sel:WORD_0
	v_lshlrev_b32_sdwa v13, v37, v28 dst_sel:DWORD dst_unused:UNUSED_PAD src0_sel:DWORD src1_sel:WORD_0
	v_sub_f32_e32 v1, v9, v1
	v_add_f32_e32 v9, v11, v32
	v_add3_u32 v11, 0, v12, v13
	ds_write2_b32 v11, v9, v1 offset1:27
	ds_write_b32 v11, v23 offset:216
.LBB0_39:
	s_or_b32 exec_lo, exec_lo, s1
	v_add_f32_e32 v1, v2, v10
	v_add_f32_e32 v9, v10, v8
	v_add_nc_u32_e32 v18, 0xb40, v5
	v_sub_f32_e32 v17, v34, v35
	v_add_nc_u32_e32 v34, 0x12e0, v5
	v_add_f32_e32 v37, v1, v8
	v_fma_f32 v38, -0.5, v9, v2
	s_waitcnt lgkmcnt(0)
	s_barrier
	buffer_gl0_inv
	ds_read2_b32 v[10:11], v5 offset1:243
	ds_read2_b32 v[8:9], v18 offset0:9 offset1:252
	ds_read2_b32 v[12:13], v34 offset0:7 offset1:250
	ds_read_b32 v15, v22 offset:1944
	ds_read_b32 v14, v5 offset:6804
	v_add_f32_e32 v35, v36, v33
	v_add_f32_e32 v1, v26, v16
	;; [unrolled: 1-line block ×3, first 2 shown]
	v_sub_f32_e32 v24, v24, v30
	v_sub_f32_e32 v2, v31, v32
	v_fmac_f32_e32 v3, -0.5, v35
	v_fma_f32 v1, -0.5, v1, v25
	v_fmamk_f32 v39, v17, 0x3f5db3d7, v38
	v_fmac_f32_e32 v38, 0xbf5db3d7, v17
	v_add_f32_e32 v17, v36, v33
	v_fmamk_f32 v30, v24, 0x3f5db3d7, v3
	v_fmac_f32_e32 v3, 0xbf5db3d7, v24
	v_fmamk_f32 v24, v2, 0xbf5db3d7, v1
	s_waitcnt lgkmcnt(0)
	s_barrier
	buffer_gl0_inv
	ds_write2_b32 v29, v37, v39 offset1:27
	ds_write_b32 v29, v38 offset:216
	ds_write2_b32 v0, v17, v30 offset1:27
	ds_write_b32 v0, v3 offset:216
	s_and_saveexec_b32 s1, s0
	s_cbranch_execz .LBB0_41
; %bb.40:
	v_mov_b32_e32 v0, 2
	v_mul_f32_e32 v2, 0x3f5db3d7, v2
	v_add_f32_e32 v3, v25, v26
	v_lshlrev_b32_sdwa v17, v0, v27 dst_sel:DWORD dst_unused:UNUSED_PAD src0_sel:DWORD src1_sel:WORD_0
	v_lshlrev_b32_sdwa v0, v0, v28 dst_sel:DWORD dst_unused:UNUSED_PAD src0_sel:DWORD src1_sel:WORD_0
	v_add_f32_e32 v3, v3, v16
	v_add_f32_e32 v1, v2, v1
	v_add3_u32 v0, 0, v17, v0
	ds_write2_b32 v0, v3, v1 offset1:27
	ds_write_b32 v0, v24 offset:216
.LBB0_41:
	s_or_b32 exec_lo, exec_lo, s1
	v_mul_lo_u16 v0, 0xcb, v19
	v_mov_b32_e32 v1, 7
	s_waitcnt lgkmcnt(0)
	s_barrier
	buffer_gl0_inv
	v_lshrrev_b16 v27, 14, v0
	v_mov_b32_e32 v29, 0xa20
	v_mul_lo_u16 v0, 0x51, v27
	v_mul_u32_u24_sdwa v29, v27, v29 dst_sel:DWORD dst_unused:UNUSED_PAD src0_sel:WORD_0 src1_sel:DWORD
	v_add_nc_u32_e32 v27, 0xa00, v5
	v_sub_nc_u16 v28, v4, v0
	v_mul_u32_u24_sdwa v0, v28, v1 dst_sel:DWORD dst_unused:UNUSED_PAD src0_sel:BYTE_0 src1_sel:DWORD
	v_lshlrev_b32_e32 v16, 3, v0
	s_clause 0x3
	global_load_dwordx4 v[30:33], v16, s[8:9] offset:624
	global_load_dwordx4 v[0:3], v16, s[8:9] offset:640
	;; [unrolled: 1-line block ×3, first 2 shown]
	global_load_dwordx2 v[25:26], v16, s[8:9] offset:672
	ds_read2_b32 v[16:17], v5 offset1:243
	ds_read_b32 v41, v22 offset:1944
	ds_read2_b32 v[18:19], v18 offset0:9 offset1:252
	ds_read2_b32 v[39:40], v34 offset0:7 offset1:250
	ds_read_b32 v42, v5 offset:6804
	v_mov_b32_e32 v34, 2
	s_waitcnt vmcnt(0) lgkmcnt(0)
	s_barrier
	buffer_gl0_inv
	v_lshlrev_b32_sdwa v34, v34, v28 dst_sel:DWORD dst_unused:UNUSED_PAD src0_sel:DWORD src1_sel:BYTE_0
	v_add_nc_u32_e32 v28, 0x1440, v5
	v_add3_u32 v29, 0, v29, v34
	v_mul_f32_e32 v34, v17, v31
	v_mul_f32_e32 v31, v11, v31
	;; [unrolled: 1-line block ×13, first 2 shown]
	v_fmac_f32_e32 v34, v11, v30
	v_fma_f32 v11, v17, v30, -v31
	v_fmac_f32_e32 v43, v15, v32
	v_fma_f32 v1, v41, v32, -v33
	v_fmac_f32_e32 v44, v8, v0
	v_fma_f32 v0, v18, v0, -v45
	v_fmac_f32_e32 v46, v9, v2
	v_fmac_f32_e32 v47, v12, v35
	v_fma_f32 v8, v39, v35, -v36
	v_fmac_f32_e32 v48, v13, v37
	v_fma_f32 v12, v40, v37, -v38
	;; [unrolled: 2-line block ×3, first 2 shown]
	v_sub_f32_e32 v14, v10, v46
	v_sub_f32_e32 v17, v43, v48
	;; [unrolled: 1-line block ×7, first 2 shown]
	v_fma_f32 v10, v10, 2.0, -v14
	v_fma_f32 v18, v43, 2.0, -v17
	;; [unrolled: 1-line block ×5, first 2 shown]
	v_add_f32_e32 v33, v14, v26
	v_add_f32_e32 v34, v12, v13
	v_fma_f32 v0, v0, 2.0, -v13
	v_sub_f32_e32 v36, v8, v15
	v_sub_f32_e32 v13, v10, v18
	v_fma_f32 v14, v14, 2.0, -v33
	v_sub_f32_e32 v18, v30, v11
	v_fma_f32 v35, v12, 2.0, -v34
	v_sub_f32_e32 v32, v31, v0
	v_fmamk_f32 v25, v34, 0x3f3504f3, v33
	v_fma_f32 v37, v8, 2.0, -v36
	v_fma_f32 v10, v10, 2.0, -v13
	;; [unrolled: 1-line block ×3, first 2 shown]
	v_fmamk_f32 v12, v35, 0xbf3504f3, v14
	v_add_f32_e32 v0, v13, v32
	v_fmac_f32_e32 v25, 0x3f3504f3, v36
	v_add_nc_u32_e32 v30, 0x600, v29
	v_sub_f32_e32 v11, v10, v11
	v_fmac_f32_e32 v12, 0x3f3504f3, v37
	v_fma_f32 v13, v13, 2.0, -v0
	v_fma_f32 v15, v33, 2.0, -v25
	v_add_nc_u32_e32 v8, 0x400, v29
	v_fma_f32 v10, v10, 2.0, -v11
	v_fma_f32 v14, v14, 2.0, -v12
	ds_write2_b32 v30, v0, v25 offset0:102 offset1:183
	ds_write2_b32 v29, v13, v15 offset0:162 offset1:243
	;; [unrolled: 1-line block ×3, first 2 shown]
	ds_write2_b32 v29, v10, v14 offset1:81
	s_waitcnt lgkmcnt(0)
	s_barrier
	buffer_gl0_inv
	ds_read2_b32 v[10:11], v5 offset1:243
	ds_read2_b32 v[12:13], v27 offset0:8 offset1:251
	ds_read2_b32 v[14:15], v28 offset1:243
	v_mul_f32_e32 v33, 0x3f3504f3, v35
	v_mul_f32_e32 v35, 0x3f3504f3, v37
	;; [unrolled: 1-line block ×4, first 2 shown]
	s_and_saveexec_b32 s1, s0
	s_cbranch_execz .LBB0_43
; %bb.42:
	ds_read_b32 v25, v5 offset:4536
	ds_read_b32 v0, v22 offset:1944
	;; [unrolled: 1-line block ×3, first 2 shown]
.LBB0_43:
	s_or_b32 exec_lo, exec_lo, s1
	v_mul_f32_e32 v3, v9, v3
	v_fma_f32 v1, v1, 2.0, -v26
	s_waitcnt lgkmcnt(0)
	s_barrier
	buffer_gl0_inv
	v_fma_f32 v2, v19, v2, -v3
	v_sub_f32_e32 v2, v16, v2
	v_fma_f32 v3, v16, 2.0, -v2
	v_sub_f32_e32 v9, v2, v17
	v_fma_f32 v17, v31, 2.0, -v32
	;; [unrolled: 2-line block ×3, first 2 shown]
	v_add_f32_e32 v19, v9, v36
	v_fma_f32 v3, v3, 2.0, -v16
	v_sub_f32_e32 v31, v2, v35
	v_sub_f32_e32 v1, v16, v18
	v_sub_f32_e32 v26, v19, v34
	v_sub_f32_e32 v17, v3, v17
	v_sub_f32_e32 v18, v31, v33
	v_fma_f32 v16, v16, 2.0, -v1
	v_fma_f32 v9, v9, 2.0, -v26
	;; [unrolled: 1-line block ×4, first 2 shown]
	ds_write2_b32 v30, v1, v26 offset0:102 offset1:183
	ds_write2_b32 v29, v16, v9 offset0:162 offset1:243
	;; [unrolled: 1-line block ×3, first 2 shown]
	ds_write2_b32 v29, v3, v2 offset1:81
	s_waitcnt lgkmcnt(0)
	s_barrier
	buffer_gl0_inv
	ds_read2_b32 v[8:9], v5 offset1:243
	ds_read2_b32 v[16:17], v27 offset0:8 offset1:251
	ds_read2_b32 v[18:19], v28 offset1:243
	s_and_saveexec_b32 s1, s0
	s_cbranch_execz .LBB0_45
; %bb.44:
	ds_read_b32 v26, v5 offset:4536
	ds_read_b32 v1, v22 offset:1944
	;; [unrolled: 1-line block ×3, first 2 shown]
.LBB0_45:
	s_or_b32 exec_lo, exec_lo, s1
	s_and_saveexec_b32 s1, vcc_lo
	s_cbranch_execz .LBB0_48
; %bb.46:
	v_lshlrev_b32_e32 v2, 1, v21
	v_mov_b32_e32 v3, 0
	v_lshlrev_b64 v[21:22], 3, v[2:3]
	v_lshlrev_b32_e32 v2, 1, v4
	v_lshlrev_b64 v[31:32], 3, v[2:3]
	v_add_co_u32 v5, vcc_lo, s8, v21
	v_add_co_ci_u32_e32 v22, vcc_lo, s9, v22, vcc_lo
	v_add_co_u32 v21, vcc_lo, 0x1000, v5
	v_add_co_ci_u32_e32 v22, vcc_lo, 0, v22, vcc_lo
	v_add_co_u32 v2, vcc_lo, s8, v31
	v_add_co_ci_u32_e32 v5, vcc_lo, s9, v32, vcc_lo
	global_load_dwordx4 v[27:30], v[21:22], off offset:1064
	v_add_co_u32 v21, vcc_lo, 0x1000, v2
	v_add_co_ci_u32_e32 v22, vcc_lo, 0, v5, vcc_lo
	v_mov_b32_e32 v5, v3
	v_add_co_u32 v2, vcc_lo, s2, v6
	global_load_dwordx4 v[31:34], v[21:22], off offset:1064
	v_add_co_ci_u32_e32 v6, vcc_lo, s3, v7, vcc_lo
	v_lshlrev_b64 v[21:22], 3, v[4:5]
	v_add_co_u32 v5, vcc_lo, v2, v21
	v_add_co_ci_u32_e32 v6, vcc_lo, v6, v22, vcc_lo
	v_add_co_u32 v21, vcc_lo, 0x1000, v5
	v_add_co_ci_u32_e32 v22, vcc_lo, 0, v6, vcc_lo
	;; [unrolled: 2-line block ×4, first 2 shown]
	s_waitcnt vmcnt(1)
	v_mul_f32_e32 v2, v13, v28
	v_mul_f32_e32 v7, v15, v30
	s_waitcnt lgkmcnt(1)
	v_mul_f32_e32 v28, v17, v28
	s_waitcnt lgkmcnt(0)
	v_mul_f32_e32 v30, v19, v30
	v_fma_f32 v2, v17, v27, -v2
	v_fma_f32 v7, v19, v29, -v7
	v_fmac_f32_e32 v28, v13, v27
	v_fmac_f32_e32 v30, v15, v29
	s_waitcnt vmcnt(0)
	v_mul_f32_e32 v13, v12, v32
	v_mul_f32_e32 v15, v14, v34
	;; [unrolled: 1-line block ×4, first 2 shown]
	v_add_f32_e32 v27, v2, v7
	v_sub_f32_e32 v34, v2, v7
	v_add_f32_e32 v2, v9, v2
	v_fma_f32 v16, v16, v31, -v13
	v_fma_f32 v39, v18, v33, -v15
	v_sub_f32_e32 v29, v28, v30
	v_add_f32_e32 v32, v28, v30
	v_add_f32_e32 v28, v11, v28
	v_fmac_f32_e32 v17, v12, v31
	v_fmac_f32_e32 v19, v14, v33
	v_add_f32_e32 v14, v2, v7
	v_add_f32_e32 v2, v16, v39
	v_fma_f32 v12, -0.5, v27, v9
	v_add_f32_e32 v13, v28, v30
	v_sub_f32_e32 v7, v17, v19
	v_add_f32_e32 v9, v17, v19
	v_add_f32_e32 v28, v10, v17
	v_fma_f32 v18, -0.5, v2, v8
	v_add_f32_e32 v27, v8, v16
	v_fma_f32 v11, -0.5, v32, v11
	v_sub_f32_e32 v30, v16, v39
	v_fma_f32 v17, -0.5, v9, v10
	v_add_f32_e32 v9, v28, v19
	v_fmamk_f32 v28, v7, 0xbf5db3d7, v18
	v_fmac_f32_e32 v18, 0x3f5db3d7, v7
	v_add_co_u32 v7, vcc_lo, 0x3000, v5
	v_add_co_ci_u32_e32 v8, vcc_lo, 0, v6, vcc_lo
	v_add_f32_e32 v10, v27, v39
	v_fmamk_f32 v16, v29, 0xbf5db3d7, v12
	v_fmamk_f32 v15, v34, 0x3f5db3d7, v11
	v_fmac_f32_e32 v12, 0x3f5db3d7, v29
	v_fmac_f32_e32 v11, 0xbf5db3d7, v34
	v_fmamk_f32 v27, v30, 0x3f5db3d7, v17
	v_fmac_f32_e32 v17, 0xbf5db3d7, v30
	global_store_dwordx2 v[5:6], v[13:14], off offset:1944
	global_store_dwordx2 v[5:6], v[9:10], off
	global_store_dwordx2 v[37:38], v[11:12], off offset:984
	global_store_dwordx2 v[21:22], v[17:18], off offset:1088
	;; [unrolled: 1-line block ×4, first 2 shown]
	s_and_b32 exec_lo, exec_lo, s0
	s_cbranch_execz .LBB0_48
; %bb.47:
	v_add_nc_u32_e32 v2, 0xffffff5e, v4
	v_cndmask_b32_e64 v2, v2, v20, s0
	v_lshlrev_b32_e32 v2, 1, v2
	v_lshlrev_b64 v[2:3], 3, v[2:3]
	v_add_co_u32 v2, vcc_lo, s8, v2
	v_add_co_ci_u32_e32 v3, vcc_lo, s9, v3, vcc_lo
	v_add_co_u32 v2, vcc_lo, 0x1000, v2
	v_add_co_ci_u32_e32 v3, vcc_lo, 0, v3, vcc_lo
	global_load_dwordx4 v[9:12], v[2:3], off offset:1064
	v_add_co_u32 v2, vcc_lo, 0x800, v5
	v_add_co_ci_u32_e32 v3, vcc_lo, 0, v6, vcc_lo
	s_waitcnt vmcnt(0)
	v_mul_f32_e32 v13, v26, v10
	v_mul_f32_e32 v4, v25, v10
	;; [unrolled: 1-line block ×4, first 2 shown]
	v_fmac_f32_e32 v13, v25, v9
	v_fma_f32 v9, v26, v9, -v4
	v_fmac_f32_e32 v10, v23, v11
	v_fma_f32 v11, v24, v11, -v12
	v_add_co_u32 v4, vcc_lo, 0x2000, v5
	v_add_co_ci_u32_e32 v5, vcc_lo, 0, v6, vcc_lo
	v_add_f32_e32 v6, v13, v10
	v_add_f32_e32 v14, v9, v11
	;; [unrolled: 1-line block ×4, first 2 shown]
	v_sub_f32_e32 v15, v9, v11
	v_fmac_f32_e32 v0, -0.5, v6
	v_sub_f32_e32 v6, v13, v10
	v_fmac_f32_e32 v1, -0.5, v14
	v_add_f32_e32 v9, v12, v10
	v_add_f32_e32 v10, v16, v11
	v_fmamk_f32 v11, v15, 0xbf5db3d7, v0
	v_fmac_f32_e32 v0, 0x3f5db3d7, v15
	v_fmamk_f32 v12, v6, 0x3f5db3d7, v1
	v_fmac_f32_e32 v1, 0xbf5db3d7, v6
	global_store_dwordx2 v[2:3], v[9:10], off offset:1840
	global_store_dwordx2 v[4:5], v[11:12], off offset:880
	;; [unrolled: 1-line block ×3, first 2 shown]
.LBB0_48:
	s_endpgm
	.section	.rodata,"a",@progbits
	.p2align	6, 0x0
	.amdhsa_kernel fft_rtc_back_len1944_factors_3_3_3_3_8_3_wgs_243_tpt_243_halfLds_sp_ip_CI_unitstride_sbrr_dirReg
		.amdhsa_group_segment_fixed_size 0
		.amdhsa_private_segment_fixed_size 0
		.amdhsa_kernarg_size 88
		.amdhsa_user_sgpr_count 6
		.amdhsa_user_sgpr_private_segment_buffer 1
		.amdhsa_user_sgpr_dispatch_ptr 0
		.amdhsa_user_sgpr_queue_ptr 0
		.amdhsa_user_sgpr_kernarg_segment_ptr 1
		.amdhsa_user_sgpr_dispatch_id 0
		.amdhsa_user_sgpr_flat_scratch_init 0
		.amdhsa_user_sgpr_private_segment_size 0
		.amdhsa_wavefront_size32 1
		.amdhsa_uses_dynamic_stack 0
		.amdhsa_system_sgpr_private_segment_wavefront_offset 0
		.amdhsa_system_sgpr_workgroup_id_x 1
		.amdhsa_system_sgpr_workgroup_id_y 0
		.amdhsa_system_sgpr_workgroup_id_z 0
		.amdhsa_system_sgpr_workgroup_info 0
		.amdhsa_system_vgpr_workitem_id 0
		.amdhsa_next_free_vgpr 50
		.amdhsa_next_free_sgpr 21
		.amdhsa_reserve_vcc 1
		.amdhsa_reserve_flat_scratch 0
		.amdhsa_float_round_mode_32 0
		.amdhsa_float_round_mode_16_64 0
		.amdhsa_float_denorm_mode_32 3
		.amdhsa_float_denorm_mode_16_64 3
		.amdhsa_dx10_clamp 1
		.amdhsa_ieee_mode 1
		.amdhsa_fp16_overflow 0
		.amdhsa_workgroup_processor_mode 1
		.amdhsa_memory_ordered 1
		.amdhsa_forward_progress 0
		.amdhsa_shared_vgpr_count 0
		.amdhsa_exception_fp_ieee_invalid_op 0
		.amdhsa_exception_fp_denorm_src 0
		.amdhsa_exception_fp_ieee_div_zero 0
		.amdhsa_exception_fp_ieee_overflow 0
		.amdhsa_exception_fp_ieee_underflow 0
		.amdhsa_exception_fp_ieee_inexact 0
		.amdhsa_exception_int_div_zero 0
	.end_amdhsa_kernel
	.text
.Lfunc_end0:
	.size	fft_rtc_back_len1944_factors_3_3_3_3_8_3_wgs_243_tpt_243_halfLds_sp_ip_CI_unitstride_sbrr_dirReg, .Lfunc_end0-fft_rtc_back_len1944_factors_3_3_3_3_8_3_wgs_243_tpt_243_halfLds_sp_ip_CI_unitstride_sbrr_dirReg
                                        ; -- End function
	.section	.AMDGPU.csdata,"",@progbits
; Kernel info:
; codeLenInByte = 6572
; NumSgprs: 23
; NumVgprs: 50
; ScratchSize: 0
; MemoryBound: 0
; FloatMode: 240
; IeeeMode: 1
; LDSByteSize: 0 bytes/workgroup (compile time only)
; SGPRBlocks: 2
; VGPRBlocks: 6
; NumSGPRsForWavesPerEU: 23
; NumVGPRsForWavesPerEU: 50
; Occupancy: 16
; WaveLimiterHint : 1
; COMPUTE_PGM_RSRC2:SCRATCH_EN: 0
; COMPUTE_PGM_RSRC2:USER_SGPR: 6
; COMPUTE_PGM_RSRC2:TRAP_HANDLER: 0
; COMPUTE_PGM_RSRC2:TGID_X_EN: 1
; COMPUTE_PGM_RSRC2:TGID_Y_EN: 0
; COMPUTE_PGM_RSRC2:TGID_Z_EN: 0
; COMPUTE_PGM_RSRC2:TIDIG_COMP_CNT: 0
	.text
	.p2alignl 6, 3214868480
	.fill 48, 4, 3214868480
	.type	__hip_cuid_b066c7e0513e0758,@object ; @__hip_cuid_b066c7e0513e0758
	.section	.bss,"aw",@nobits
	.globl	__hip_cuid_b066c7e0513e0758
__hip_cuid_b066c7e0513e0758:
	.byte	0                               ; 0x0
	.size	__hip_cuid_b066c7e0513e0758, 1

	.ident	"AMD clang version 19.0.0git (https://github.com/RadeonOpenCompute/llvm-project roc-6.4.0 25133 c7fe45cf4b819c5991fe208aaa96edf142730f1d)"
	.section	".note.GNU-stack","",@progbits
	.addrsig
	.addrsig_sym __hip_cuid_b066c7e0513e0758
	.amdgpu_metadata
---
amdhsa.kernels:
  - .args:
      - .actual_access:  read_only
        .address_space:  global
        .offset:         0
        .size:           8
        .value_kind:     global_buffer
      - .offset:         8
        .size:           8
        .value_kind:     by_value
      - .actual_access:  read_only
        .address_space:  global
        .offset:         16
        .size:           8
        .value_kind:     global_buffer
      - .actual_access:  read_only
        .address_space:  global
        .offset:         24
        .size:           8
        .value_kind:     global_buffer
      - .offset:         32
        .size:           8
        .value_kind:     by_value
      - .actual_access:  read_only
        .address_space:  global
        .offset:         40
        .size:           8
        .value_kind:     global_buffer
      - .actual_access:  read_only
        .address_space:  global
        .offset:         48
        .size:           8
        .value_kind:     global_buffer
      - .offset:         56
        .size:           4
        .value_kind:     by_value
      - .actual_access:  read_only
        .address_space:  global
        .offset:         64
        .size:           8
        .value_kind:     global_buffer
      - .actual_access:  read_only
        .address_space:  global
        .offset:         72
        .size:           8
        .value_kind:     global_buffer
      - .address_space:  global
        .offset:         80
        .size:           8
        .value_kind:     global_buffer
    .group_segment_fixed_size: 0
    .kernarg_segment_align: 8
    .kernarg_segment_size: 88
    .language:       OpenCL C
    .language_version:
      - 2
      - 0
    .max_flat_workgroup_size: 243
    .name:           fft_rtc_back_len1944_factors_3_3_3_3_8_3_wgs_243_tpt_243_halfLds_sp_ip_CI_unitstride_sbrr_dirReg
    .private_segment_fixed_size: 0
    .sgpr_count:     23
    .sgpr_spill_count: 0
    .symbol:         fft_rtc_back_len1944_factors_3_3_3_3_8_3_wgs_243_tpt_243_halfLds_sp_ip_CI_unitstride_sbrr_dirReg.kd
    .uniform_work_group_size: 1
    .uses_dynamic_stack: false
    .vgpr_count:     50
    .vgpr_spill_count: 0
    .wavefront_size: 32
    .workgroup_processor_mode: 1
amdhsa.target:   amdgcn-amd-amdhsa--gfx1030
amdhsa.version:
  - 1
  - 2
...

	.end_amdgpu_metadata
